;; amdgpu-corpus repo=zjin-lcf/HeCBench kind=compiled arch=gfx1030 opt=O3
	.amdgcn_target "amdgcn-amd-amdhsa--gfx1030"
	.amdhsa_code_object_version 6
	.text
	.protected	_Z1kPii                 ; -- Begin function _Z1kPii
	.globl	_Z1kPii
	.p2align	8
	.type	_Z1kPii,@function
_Z1kPii:                                ; @_Z1kPii
; %bb.0:
	s_load_dword s2, s[4:5], 0x8
	v_mov_b32_e32 v3, 0
	s_waitcnt lgkmcnt(0)
	v_cvt_f32_u32_e32 v1, s2
	s_sub_i32 s0, 0, s2
	v_rcp_iflag_f32_e32 v1, v1
	v_mul_f32_e32 v1, 0x4f7ffffe, v1
	v_cvt_u32_f32_e32 v1, v1
	v_mul_lo_u32 v2, s0, v1
	s_load_dwordx2 s[0:1], s[4:5], 0x0
	v_mul_hi_u32 v2, v1, v2
	v_add_nc_u32_e32 v1, v1, v2
	v_mul_hi_u32 v1, v0, v1
	v_mul_lo_u32 v1, v1, s2
	v_sub_nc_u32_e32 v1, v0, v1
	v_and_b32_e32 v0, 31, v0
	v_subrev_nc_u32_e32 v2, s2, v1
	v_cmp_le_u32_e32 vcc_lo, s2, v1
	v_cndmask_b32_e32 v1, v1, v2, vcc_lo
	v_subrev_nc_u32_e32 v2, s2, v1
	v_cmp_le_u32_e32 vcc_lo, s2, v1
	v_cndmask_b32_e32 v2, v1, v2, vcc_lo
	v_lshlrev_b64 v[1:2], 2, v[2:3]
	s_waitcnt lgkmcnt(0)
	v_add_co_u32 v1, vcc_lo, s0, v1
	v_add_co_ci_u32_e64 v2, null, s1, v2, vcc_lo
	v_cmp_eq_u32_e64 s1, 1, v0
	ds_bpermute_b32 v4, v3, v1 offset:4
	ds_bpermute_b32 v6, v3, v1
	ds_bpermute_b32 v5, v3, v2 offset:4
	ds_bpermute_b32 v7, v3, v2
	ds_bpermute_b32 v8, v3, v1 offset:8
	ds_bpermute_b32 v9, v3, v2 offset:8
	;; [unrolled: 1-line block ×6, first 2 shown]
	s_waitcnt lgkmcnt(7)
	v_cmp_eq_u64_e64 s0, v[4:5], v[1:2]
	ds_bpermute_b32 v4, v3, v1 offset:20
	ds_bpermute_b32 v5, v3, v2 offset:20
	s_waitcnt lgkmcnt(8)
	v_cmp_eq_u64_e32 vcc_lo, v[6:7], v[1:2]
	ds_bpermute_b32 v6, v3, v1 offset:24
	ds_bpermute_b32 v7, v3, v2 offset:24
	v_mov_b32_e32 v14, s0
	s_waitcnt lgkmcnt(8)
	v_cmp_eq_u64_e64 s0, v[8:9], v[1:2]
	ds_bpermute_b32 v8, v3, v1 offset:28
	ds_bpermute_b32 v9, v3, v2 offset:28
	v_cndmask_b32_e64 v14, vcc_lo, v14, s1
	v_cmp_eq_u32_e64 s1, 2, v0
	s_waitcnt lgkmcnt(8)
	v_cmp_eq_u64_e32 vcc_lo, v[10:11], v[1:2]
	ds_bpermute_b32 v10, v3, v1 offset:32
	ds_bpermute_b32 v11, v3, v2 offset:32
	v_cndmask_b32_e64 v14, v14, s0, s1
	v_cmp_eq_u32_e64 s1, 3, v0
	s_waitcnt lgkmcnt(8)
	v_cmp_eq_u64_e64 s0, v[12:13], v[1:2]
	ds_bpermute_b32 v12, v3, v1 offset:36
	ds_bpermute_b32 v13, v3, v2 offset:36
	v_cndmask_b32_e64 v14, v14, vcc_lo, s1
	v_cmp_eq_u32_e64 s1, 4, v0
	s_waitcnt lgkmcnt(8)
	v_cmp_eq_u64_e32 vcc_lo, v[4:5], v[1:2]
	ds_bpermute_b32 v4, v3, v1 offset:40
	ds_bpermute_b32 v5, v3, v2 offset:40
	v_cndmask_b32_e64 v14, v14, s0, s1
	v_cmp_eq_u32_e64 s1, 5, v0
	s_waitcnt lgkmcnt(8)
	v_cmp_eq_u64_e64 s0, v[6:7], v[1:2]
	ds_bpermute_b32 v6, v3, v1 offset:44
	ds_bpermute_b32 v7, v3, v2 offset:44
	v_cndmask_b32_e64 v14, v14, vcc_lo, s1
	;; [unrolled: 12-line block ×10, first 2 shown]
	v_cmp_eq_u32_e64 s1, 22, v0
	s_waitcnt lgkmcnt(8)
	v_cmp_eq_u64_e32 vcc_lo, v[10:11], v[1:2]
	ds_bpermute_b32 v10, v3, v1 offset:112
	ds_bpermute_b32 v11, v3, v2 offset:112
	v_cndmask_b32_e64 v14, v14, s0, s1
	v_cmp_eq_u32_e64 s1, 23, v0
	s_waitcnt lgkmcnt(8)
	v_cmp_eq_u64_e64 s0, v[12:13], v[1:2]
	v_cndmask_b32_e64 v12, v14, vcc_lo, s1
	v_cmp_eq_u32_e64 s1, 24, v0
	s_waitcnt lgkmcnt(6)
	v_cmp_eq_u64_e32 vcc_lo, v[4:5], v[1:2]
	ds_bpermute_b32 v4, v3, v1 offset:116
	ds_bpermute_b32 v5, v3, v2 offset:116
	v_cndmask_b32_e64 v12, v12, s0, s1
	v_cmp_eq_u32_e64 s1, 25, v0
	s_waitcnt lgkmcnt(6)
	v_cmp_eq_u64_e64 s0, v[6:7], v[1:2]
	ds_bpermute_b32 v6, v3, v1 offset:120
	ds_bpermute_b32 v7, v3, v2 offset:120
	v_cndmask_b32_e64 v12, v12, vcc_lo, s1
	v_cmp_eq_u32_e64 s1, 26, v0
	s_waitcnt lgkmcnt(6)
	v_cmp_eq_u64_e32 vcc_lo, v[8:9], v[1:2]
	ds_bpermute_b32 v8, v3, v1 offset:124
	ds_bpermute_b32 v9, v3, v2 offset:124
	v_cndmask_b32_e64 v3, v12, s0, s1
	v_cmp_eq_u32_e64 s1, 27, v0
	s_waitcnt lgkmcnt(6)
	v_cmp_eq_u64_e64 s0, v[10:11], v[1:2]
	v_cndmask_b32_e64 v3, v3, vcc_lo, s1
	v_cmp_eq_u32_e64 s1, 28, v0
	s_waitcnt lgkmcnt(4)
	v_cmp_eq_u64_e32 vcc_lo, v[4:5], v[1:2]
	v_cndmask_b32_e64 v3, v3, s0, s1
	v_cmp_eq_u32_e64 s1, 29, v0
	s_waitcnt lgkmcnt(2)
	v_cmp_eq_u64_e64 s0, v[6:7], v[1:2]
	v_cndmask_b32_e64 v3, v3, vcc_lo, s1
	v_cmp_eq_u32_e64 s1, 30, v0
	s_waitcnt lgkmcnt(0)
	v_cmp_eq_u64_e32 vcc_lo, v[8:9], v[1:2]
	v_cndmask_b32_e64 v3, v3, s0, s1
	v_cmp_eq_u32_e64 s0, 31, v0
	v_cndmask_b32_e64 v3, v3, vcc_lo, s0
	v_ffbl_b32_e32 v4, v3
	v_cmp_ne_u32_e32 vcc_lo, 0, v3
	v_cmp_eq_u32_e64 s0, v4, v0
	s_and_b32 s0, vcc_lo, s0
	s_and_saveexec_b32 s1, s0
	s_cbranch_execz .LBB0_2
; %bb.1:
	v_bcnt_u32_b32 v0, v3, 0
	global_atomic_add v[1:2], v0, off
.LBB0_2:
	s_endpgm
	.section	.rodata,"a",@progbits
	.p2align	6, 0x0
	.amdhsa_kernel _Z1kPii
		.amdhsa_group_segment_fixed_size 0
		.amdhsa_private_segment_fixed_size 0
		.amdhsa_kernarg_size 12
		.amdhsa_user_sgpr_count 6
		.amdhsa_user_sgpr_private_segment_buffer 1
		.amdhsa_user_sgpr_dispatch_ptr 0
		.amdhsa_user_sgpr_queue_ptr 0
		.amdhsa_user_sgpr_kernarg_segment_ptr 1
		.amdhsa_user_sgpr_dispatch_id 0
		.amdhsa_user_sgpr_flat_scratch_init 0
		.amdhsa_user_sgpr_private_segment_size 0
		.amdhsa_wavefront_size32 1
		.amdhsa_uses_dynamic_stack 0
		.amdhsa_system_sgpr_private_segment_wavefront_offset 0
		.amdhsa_system_sgpr_workgroup_id_x 1
		.amdhsa_system_sgpr_workgroup_id_y 0
		.amdhsa_system_sgpr_workgroup_id_z 0
		.amdhsa_system_sgpr_workgroup_info 0
		.amdhsa_system_vgpr_workitem_id 0
		.amdhsa_next_free_vgpr 15
		.amdhsa_next_free_sgpr 6
		.amdhsa_reserve_vcc 1
		.amdhsa_reserve_flat_scratch 0
		.amdhsa_float_round_mode_32 0
		.amdhsa_float_round_mode_16_64 0
		.amdhsa_float_denorm_mode_32 3
		.amdhsa_float_denorm_mode_16_64 3
		.amdhsa_dx10_clamp 1
		.amdhsa_ieee_mode 1
		.amdhsa_fp16_overflow 0
		.amdhsa_workgroup_processor_mode 1
		.amdhsa_memory_ordered 1
		.amdhsa_forward_progress 1
		.amdhsa_shared_vgpr_count 0
		.amdhsa_exception_fp_ieee_invalid_op 0
		.amdhsa_exception_fp_denorm_src 0
		.amdhsa_exception_fp_ieee_div_zero 0
		.amdhsa_exception_fp_ieee_overflow 0
		.amdhsa_exception_fp_ieee_underflow 0
		.amdhsa_exception_fp_ieee_inexact 0
		.amdhsa_exception_int_div_zero 0
	.end_amdhsa_kernel
	.text
.Lfunc_end0:
	.size	_Z1kPii, .Lfunc_end0-_Z1kPii
                                        ; -- End function
	.set _Z1kPii.num_vgpr, 15
	.set _Z1kPii.num_agpr, 0
	.set _Z1kPii.numbered_sgpr, 6
	.set _Z1kPii.num_named_barrier, 0
	.set _Z1kPii.private_seg_size, 0
	.set _Z1kPii.uses_vcc, 1
	.set _Z1kPii.uses_flat_scratch, 0
	.set _Z1kPii.has_dyn_sized_stack, 0
	.set _Z1kPii.has_recursion, 0
	.set _Z1kPii.has_indirect_call, 0
	.section	.AMDGPU.csdata,"",@progbits
; Kernel info:
; codeLenInByte = 1524
; TotalNumSgprs: 8
; NumVgprs: 15
; ScratchSize: 0
; MemoryBound: 0
; FloatMode: 240
; IeeeMode: 1
; LDSByteSize: 0 bytes/workgroup (compile time only)
; SGPRBlocks: 0
; VGPRBlocks: 1
; NumSGPRsForWavesPerEU: 8
; NumVGPRsForWavesPerEU: 15
; Occupancy: 16
; WaveLimiterHint : 0
; COMPUTE_PGM_RSRC2:SCRATCH_EN: 0
; COMPUTE_PGM_RSRC2:USER_SGPR: 6
; COMPUTE_PGM_RSRC2:TRAP_HANDLER: 0
; COMPUTE_PGM_RSRC2:TGID_X_EN: 1
; COMPUTE_PGM_RSRC2:TGID_Y_EN: 0
; COMPUTE_PGM_RSRC2:TGID_Z_EN: 0
; COMPUTE_PGM_RSRC2:TIDIG_COMP_CNT: 0
	.text
	.protected	_Z2k2Pii                ; -- Begin function _Z2k2Pii
	.globl	_Z2k2Pii
	.p2align	8
	.type	_Z2k2Pii,@function
_Z2k2Pii:                               ; @_Z2k2Pii
; %bb.0:
	s_load_dword s2, s[4:5], 0x8
	v_and_b32_e32 v4, 63, v0
	s_mov_b32 s6, 0
	s_mov_b32 s7, 7
	v_sub_nc_u32_e32 v5, 0, v4
	s_waitcnt lgkmcnt(0)
	v_cvt_f32_u32_e32 v1, s2
	s_sub_i32 s0, 0, s2
	v_rcp_iflag_f32_e32 v1, v1
	v_mul_f32_e32 v1, 0x4f7ffffe, v1
	v_cvt_u32_f32_e32 v1, v1
	v_mul_lo_u32 v2, s0, v1
	s_load_dwordx2 s[0:1], s[4:5], 0x0
	v_mul_hi_u32 v2, v1, v2
	v_add_nc_u32_e32 v1, v1, v2
	v_mul_hi_u32 v1, v0, v1
	v_mul_lo_u32 v1, v1, s2
	v_sub_nc_u32_e32 v1, v0, v1
	v_subrev_nc_u32_e32 v2, s2, v1
	v_cmp_le_u32_e32 vcc_lo, s2, v1
	v_cndmask_b32_e32 v1, v1, v2, vcc_lo
	v_mov_b32_e32 v2, 0
	v_subrev_nc_u32_e32 v3, s2, v1
	v_cmp_le_u32_e32 vcc_lo, s2, v1
	v_cndmask_b32_e32 v1, v1, v3, vcc_lo
	v_lshlrev_b64 v[1:2], 2, v[1:2]
	s_waitcnt lgkmcnt(0)
	v_add_co_u32 v0, vcc_lo, s0, v1
	v_add_co_ci_u32_e64 v1, null, s1, v2, vcc_lo
                                        ; implicit-def: $vgpr2_vgpr3
.LBB1_1:                                ; =>This Inner Loop Header: Depth=1
	s_add_i32 s0, s7, -7
	s_add_i32 s1, s7, -6
	s_and_b32 s0, s0, 24
	s_and_b32 s1, s1, 25
	s_lshl_b32 s0, s0, 2
	s_lshl_b32 s1, s1, 2
	v_mov_b32_e32 v9, s0
	s_add_i32 s2, s7, -5
	v_mov_b32_e32 v11, s1
	s_and_b32 s2, s2, 26
	s_add_i32 s3, s7, -4
	ds_bpermute_b32 v8, v9, v0
	ds_bpermute_b32 v9, v9, v1
	s_lshl_b32 s2, s2, 2
	ds_bpermute_b32 v10, v11, v0
	v_mov_b32_e32 v13, s2
	ds_bpermute_b32 v11, v11, v1
	s_and_b32 s3, s3, 27
	s_add_i32 s4, s7, -3
	s_lshl_b32 s3, s3, 2
	ds_bpermute_b32 v12, v13, v0
	v_mov_b32_e32 v15, s3
	ds_bpermute_b32 v13, v13, v1
	s_and_b32 s4, s4, 28
	s_add_i32 s5, s7, -2
	s_lshl_b32 s4, s4, 2
	ds_bpermute_b32 v14, v15, v0
	v_mov_b32_e32 v17, s4
	ds_bpermute_b32 v15, v15, v1
	v_add_nc_u32_e32 v22, s7, v5
	s_and_b32 s5, s5, 29
	s_add_i32 s14, s7, -1
	s_lshl_b32 s5, s5, 2
	ds_bpermute_b32 v16, v17, v0
	v_mov_b32_e32 v19, s5
	ds_bpermute_b32 v17, v17, v1
	s_waitcnt lgkmcnt(8)
	v_cmp_eq_u64_e32 vcc_lo, v[8:9], v[0:1]
	s_and_b32 s14, s14, 30
	v_cmp_eq_u32_e64 s0, 7, v22
	s_lshl_b32 s14, s14, 2
	s_or_b32 s8, s6, 1
	v_mov_b32_e32 v21, s14
	ds_bpermute_b32 v18, v19, v0
	ds_bpermute_b32 v19, v19, v1
	s_waitcnt lgkmcnt(8)
	v_cmp_eq_u64_e64 s1, v[10:11], v[0:1]
	s_lshl_b32 s15, s7, 2
	v_cndmask_b32_e64 v2, v2, vcc_lo, s0
	v_cndmask_b32_e64 v3, v3, 0, s0
	v_cmp_eq_u32_e32 vcc_lo, s8, v4
	s_and_b32 s15, s15, 0x7c
	s_or_b32 s9, s6, 2
	v_mov_b32_e32 v7, s15
	ds_bpermute_b32 v20, v21, v0
	ds_bpermute_b32 v21, v21, v1
	s_waitcnt lgkmcnt(8)
	v_cmp_eq_u64_e64 s2, v[12:13], v[0:1]
	v_cndmask_b32_e64 v3, v3, 0, vcc_lo
	v_cndmask_b32_e64 v2, v2, s1, vcc_lo
	v_cmp_eq_u32_e32 vcc_lo, s9, v4
	s_or_b32 s10, s6, 3
	ds_bpermute_b32 v6, v7, v0
	ds_bpermute_b32 v7, v7, v1
	s_waitcnt lgkmcnt(8)
	v_cmp_eq_u64_e64 s3, v[14:15], v[0:1]
	v_cndmask_b32_e64 v2, v2, s2, vcc_lo
	v_cndmask_b32_e64 v3, v3, 0, vcc_lo
	v_cmp_eq_u32_e32 vcc_lo, s10, v4
	s_or_b32 s11, s6, 4
	s_waitcnt lgkmcnt(6)
	v_cmp_eq_u64_e64 s4, v[16:17], v[0:1]
	s_or_b32 s12, s6, 5
	s_waitcnt lgkmcnt(4)
	v_cmp_eq_u64_e64 s5, v[18:19], v[0:1]
	v_cndmask_b32_e64 v3, v3, 0, vcc_lo
	v_cndmask_b32_e64 v2, v2, s3, vcc_lo
	v_cmp_eq_u32_e32 vcc_lo, s11, v4
	s_or_b32 s13, s6, 6
	s_waitcnt lgkmcnt(2)
	v_cmp_eq_u64_e64 s0, v[20:21], v[0:1]
	s_or_b32 s2, s6, 7
	s_add_i32 s6, s6, 8
	v_cndmask_b32_e64 v2, v2, s4, vcc_lo
	v_cndmask_b32_e64 v3, v3, 0, vcc_lo
	v_cmp_eq_u32_e32 vcc_lo, s12, v4
	s_add_i32 s7, s7, 8
	s_waitcnt lgkmcnt(0)
	v_cmp_eq_u64_e64 s1, v[6:7], v[0:1]
	s_cmp_eq_u32 s6, 64
	v_cndmask_b32_e64 v3, v3, 0, vcc_lo
	v_cndmask_b32_e64 v2, v2, s5, vcc_lo
	v_cmp_eq_u32_e32 vcc_lo, s13, v4
	v_cndmask_b32_e64 v2, v2, s0, vcc_lo
	v_cndmask_b32_e64 v3, v3, 0, vcc_lo
	v_cmp_eq_u32_e32 vcc_lo, s2, v4
	v_cndmask_b32_e64 v3, v3, 0, vcc_lo
	v_cndmask_b32_e64 v2, v2, s1, vcc_lo
	s_cbranch_scc0 .LBB1_1
; %bb.2:
	v_ffbl_b32_e32 v5, v3
	v_ffbl_b32_e32 v6, v2
	v_cmp_ne_u64_e32 vcc_lo, 0, v[2:3]
	v_add_nc_u32_e32 v5, 32, v5
	v_min_u32_e32 v5, v6, v5
	v_cmp_eq_u32_e64 s0, v4, v5
	s_and_b32 s0, vcc_lo, s0
	s_and_saveexec_b32 s1, s0
	s_cbranch_execz .LBB1_4
; %bb.3:
	v_bcnt_u32_b32 v2, v2, 0
	v_bcnt_u32_b32 v2, v3, v2
	global_atomic_add v[0:1], v2, off
.LBB1_4:
	s_endpgm
	.section	.rodata,"a",@progbits
	.p2align	6, 0x0
	.amdhsa_kernel _Z2k2Pii
		.amdhsa_group_segment_fixed_size 0
		.amdhsa_private_segment_fixed_size 0
		.amdhsa_kernarg_size 12
		.amdhsa_user_sgpr_count 6
		.amdhsa_user_sgpr_private_segment_buffer 1
		.amdhsa_user_sgpr_dispatch_ptr 0
		.amdhsa_user_sgpr_queue_ptr 0
		.amdhsa_user_sgpr_kernarg_segment_ptr 1
		.amdhsa_user_sgpr_dispatch_id 0
		.amdhsa_user_sgpr_flat_scratch_init 0
		.amdhsa_user_sgpr_private_segment_size 0
		.amdhsa_wavefront_size32 1
		.amdhsa_uses_dynamic_stack 0
		.amdhsa_system_sgpr_private_segment_wavefront_offset 0
		.amdhsa_system_sgpr_workgroup_id_x 1
		.amdhsa_system_sgpr_workgroup_id_y 0
		.amdhsa_system_sgpr_workgroup_id_z 0
		.amdhsa_system_sgpr_workgroup_info 0
		.amdhsa_system_vgpr_workitem_id 0
		.amdhsa_next_free_vgpr 23
		.amdhsa_next_free_sgpr 16
		.amdhsa_reserve_vcc 1
		.amdhsa_reserve_flat_scratch 0
		.amdhsa_float_round_mode_32 0
		.amdhsa_float_round_mode_16_64 0
		.amdhsa_float_denorm_mode_32 3
		.amdhsa_float_denorm_mode_16_64 3
		.amdhsa_dx10_clamp 1
		.amdhsa_ieee_mode 1
		.amdhsa_fp16_overflow 0
		.amdhsa_workgroup_processor_mode 1
		.amdhsa_memory_ordered 1
		.amdhsa_forward_progress 1
		.amdhsa_shared_vgpr_count 0
		.amdhsa_exception_fp_ieee_invalid_op 0
		.amdhsa_exception_fp_denorm_src 0
		.amdhsa_exception_fp_ieee_div_zero 0
		.amdhsa_exception_fp_ieee_overflow 0
		.amdhsa_exception_fp_ieee_underflow 0
		.amdhsa_exception_fp_ieee_inexact 0
		.amdhsa_exception_int_div_zero 0
	.end_amdhsa_kernel
	.text
.Lfunc_end1:
	.size	_Z2k2Pii, .Lfunc_end1-_Z2k2Pii
                                        ; -- End function
	.set _Z2k2Pii.num_vgpr, 23
	.set _Z2k2Pii.num_agpr, 0
	.set _Z2k2Pii.numbered_sgpr, 16
	.set _Z2k2Pii.num_named_barrier, 0
	.set _Z2k2Pii.private_seg_size, 0
	.set _Z2k2Pii.uses_vcc, 1
	.set _Z2k2Pii.uses_flat_scratch, 0
	.set _Z2k2Pii.has_dyn_sized_stack, 0
	.set _Z2k2Pii.has_recursion, 0
	.set _Z2k2Pii.has_indirect_call, 0
	.section	.AMDGPU.csdata,"",@progbits
; Kernel info:
; codeLenInByte = 784
; TotalNumSgprs: 18
; NumVgprs: 23
; ScratchSize: 0
; MemoryBound: 0
; FloatMode: 240
; IeeeMode: 1
; LDSByteSize: 0 bytes/workgroup (compile time only)
; SGPRBlocks: 0
; VGPRBlocks: 2
; NumSGPRsForWavesPerEU: 18
; NumVGPRsForWavesPerEU: 23
; Occupancy: 16
; WaveLimiterHint : 0
; COMPUTE_PGM_RSRC2:SCRATCH_EN: 0
; COMPUTE_PGM_RSRC2:USER_SGPR: 6
; COMPUTE_PGM_RSRC2:TRAP_HANDLER: 0
; COMPUTE_PGM_RSRC2:TGID_X_EN: 1
; COMPUTE_PGM_RSRC2:TGID_Y_EN: 0
; COMPUTE_PGM_RSRC2:TGID_Z_EN: 0
; COMPUTE_PGM_RSRC2:TIDIG_COMP_CNT: 0
	.text
	.p2alignl 6, 3214868480
	.fill 48, 4, 3214868480
	.section	.AMDGPU.gpr_maximums,"",@progbits
	.set amdgpu.max_num_vgpr, 0
	.set amdgpu.max_num_agpr, 0
	.set amdgpu.max_num_sgpr, 0
	.text
	.type	__hip_cuid_c736a4f63c3e2f92,@object ; @__hip_cuid_c736a4f63c3e2f92
	.section	.bss,"aw",@nobits
	.globl	__hip_cuid_c736a4f63c3e2f92
__hip_cuid_c736a4f63c3e2f92:
	.byte	0                               ; 0x0
	.size	__hip_cuid_c736a4f63c3e2f92, 1

	.ident	"AMD clang version 22.0.0git (https://github.com/RadeonOpenCompute/llvm-project roc-7.2.4 26084 f58b06dce1f9c15707c5f808fd002e18c2accf7e)"
	.section	".note.GNU-stack","",@progbits
	.addrsig
	.addrsig_sym __hip_cuid_c736a4f63c3e2f92
	.amdgpu_metadata
---
amdhsa.kernels:
  - .args:
      - .address_space:  global
        .offset:         0
        .size:           8
        .value_kind:     global_buffer
      - .offset:         8
        .size:           4
        .value_kind:     by_value
    .group_segment_fixed_size: 0
    .kernarg_segment_align: 8
    .kernarg_segment_size: 12
    .language:       OpenCL C
    .language_version:
      - 2
      - 0
    .max_flat_workgroup_size: 1024
    .name:           _Z1kPii
    .private_segment_fixed_size: 0
    .sgpr_count:     8
    .sgpr_spill_count: 0
    .symbol:         _Z1kPii.kd
    .uniform_work_group_size: 1
    .uses_dynamic_stack: false
    .vgpr_count:     15
    .vgpr_spill_count: 0
    .wavefront_size: 32
    .workgroup_processor_mode: 1
  - .args:
      - .address_space:  global
        .offset:         0
        .size:           8
        .value_kind:     global_buffer
      - .offset:         8
        .size:           4
        .value_kind:     by_value
    .group_segment_fixed_size: 0
    .kernarg_segment_align: 8
    .kernarg_segment_size: 12
    .language:       OpenCL C
    .language_version:
      - 2
      - 0
    .max_flat_workgroup_size: 1024
    .name:           _Z2k2Pii
    .private_segment_fixed_size: 0
    .sgpr_count:     18
    .sgpr_spill_count: 0
    .symbol:         _Z2k2Pii.kd
    .uniform_work_group_size: 1
    .uses_dynamic_stack: false
    .vgpr_count:     23
    .vgpr_spill_count: 0
    .wavefront_size: 32
    .workgroup_processor_mode: 1
amdhsa.target:   amdgcn-amd-amdhsa--gfx1030
amdhsa.version:
  - 1
  - 2
...

	.end_amdgpu_metadata
